;; amdgpu-corpus repo=zjin-lcf/HeCBench kind=compiled arch=gfx1100 opt=O3
	.text
	.amdgcn_target "amdgcn-amd-amdhsa--gfx1100"
	.amdhsa_code_object_version 6
	.protected	_Z10findRangeKlPK5knodelPlS2_S2_S2_PKiS4_PiS5_ ; -- Begin function _Z10findRangeKlPK5knodelPlS2_S2_S2_PKiS4_PiS5_
	.globl	_Z10findRangeKlPK5knodelPlS2_S2_S2_PKiS4_PiS5_
	.p2align	8
	.type	_Z10findRangeKlPK5knodelPlS2_S2_S2_PKiS4_PiS5_,@function
_Z10findRangeKlPK5knodelPlS2_S2_S2_PKiS4_PiS5_: ; @_Z10findRangeKlPK5knodelPlS2_S2_S2_PKiS4_PiS5_
; %bb.0:
	s_clause 0x3
	s_load_b128 s[8:11], s[0:1], 0x0
	s_load_b64 s[18:19], s[0:1], 0x18
	s_load_b128 s[4:7], s[0:1], 0x38
	s_load_b64 s[16:17], s[0:1], 0x28
	s_mov_b32 s2, s15
	s_waitcnt lgkmcnt(0)
	v_cmp_gt_i64_e64 s3, s[8:9], 0
	s_delay_alu instid0(VALU_DEP_1)
	s_and_b32 vcc_lo, exec_lo, s3
	s_ashr_i32 s3, s15, 31
	s_cbranch_vccnz .LBB0_2
; %bb.1:
	s_lshl_b64 s[12:13], s[2:3], 2
	v_mov_b32_e32 v1, 0
	s_add_u32 s12, s4, s12
	s_addc_u32 s13, s5, s13
	s_load_b32 s30, s[12:13], 0x0
	s_load_b128 s[12:15], s[0:1], 0x48
	s_cbranch_execz .LBB0_3
	s_branch .LBB0_15
.LBB0_2:
                                        ; implicit-def: $sgpr30
	s_load_b128 s[12:15], s[0:1], 0x48
.LBB0_3:
	s_clause 0x1
	s_load_b64 s[24:25], s[0:1], 0x20
	s_load_b64 s[28:29], s[0:1], 0x30
	s_lshl_b64 s[26:27], s[2:3], 3
	s_load_b64 s[22:23], s[0:1], 0x10
	s_add_u32 s20, s18, s26
	s_addc_u32 s21, s19, s27
	s_waitcnt lgkmcnt(0)
	s_lshl_b64 s[30:31], s[2:3], 2
	v_dual_mov_b32 v1, 0 :: v_dual_lshlrev_b32 v4, 2, v0
	s_add_u32 s0, s4, s30
	s_addc_u32 s1, s5, s31
	s_add_u32 s4, s24, s26
	s_addc_u32 s5, s25, s27
	;; [unrolled: 2-line block ×4, first 2 shown]
	s_load_b32 s30, s[0:1], 0x0
	s_load_b32 s1, s[34:35], 0x0
	v_cmp_eq_u32_e64 s0, 0, v0
	s_add_u32 s26, s28, s26
	s_addc_u32 s27, s29, s27
	s_mov_b64 s[28:29], 0
	s_branch .LBB0_5
.LBB0_4:                                ;   in Loop: Header=BB0_5 Depth=1
	s_or_b32 exec_lo, exec_lo, s31
	s_add_u32 s28, s28, 1
	s_addc_u32 s29, s29, 0
	s_waitcnt_vscnt null, 0x0
	v_cmp_ge_u64_e64 s31, s[28:29], s[8:9]
	s_barrier
	buffer_gl0_inv
	s_and_b32 vcc_lo, exec_lo, s31
	s_cbranch_vccnz .LBB0_15
.LBB0_5:                                ; =>This Inner Loop Header: Depth=1
	global_load_b64 v[2:3], v1, s[20:21]
	s_mov_b32 s31, exec_lo
	s_waitcnt vmcnt(0)
	v_mul_lo_u32 v3, 0x814, v3
	v_mul_hi_u32 v5, 0x814, v2
	v_mul_lo_u32 v2, 0x814, v2
	s_delay_alu instid0(VALU_DEP_2) | instskip(NEXT) | instid1(VALU_DEP_2)
	v_add_nc_u32_e32 v3, v5, v3
	v_add_co_u32 v2, vcc_lo, s10, v2
	s_delay_alu instid0(VALU_DEP_2) | instskip(NEXT) | instid1(VALU_DEP_2)
	v_add_co_ci_u32_e32 v3, vcc_lo, s11, v3, vcc_lo
	v_readfirstlane_b32 s34, v2
	s_delay_alu instid0(VALU_DEP_2)
	v_readfirstlane_b32 s35, v3
	global_load_b32 v5, v4, s[34:35] offset:1032
	s_waitcnt vmcnt(0) lgkmcnt(0)
	v_cmpx_ge_i32_e64 s30, v5
	s_cbranch_execz .LBB0_9
; %bb.6:                                ;   in Loop: Header=BB0_5 Depth=1
	v_add_co_u32 v5, vcc_lo, 0x408, v2
	v_add_co_ci_u32_e32 v6, vcc_lo, 0, v3, vcc_lo
	s_delay_alu instid0(VALU_DEP_2) | instskip(NEXT) | instid1(VALU_DEP_2)
	v_readfirstlane_b32 s34, v5
	v_readfirstlane_b32 s35, v6
	global_load_b32 v5, v4, s[34:35] offset:4
	s_waitcnt vmcnt(0)
	v_cmp_lt_i32_e32 vcc_lo, s30, v5
	s_and_b32 exec_lo, exec_lo, vcc_lo
	s_cbranch_execz .LBB0_9
; %bb.7:                                ;   in Loop: Header=BB0_5 Depth=1
	v_add_co_u32 v2, vcc_lo, v2, v4
	v_add_co_ci_u32_e32 v3, vcc_lo, 0, v3, vcc_lo
	global_load_b32 v2, v[2:3], off offset:4
	s_waitcnt vmcnt(0)
	v_ashrrev_i32_e32 v3, 31, v2
	s_delay_alu instid0(VALU_DEP_1)
	v_cmp_gt_i64_e32 vcc_lo, s[22:23], v[2:3]
	s_and_b32 exec_lo, exec_lo, vcc_lo
	s_cbranch_execz .LBB0_9
; %bb.8:                                ;   in Loop: Header=BB0_5 Depth=1
	global_store_b64 v1, v[2:3], s[4:5]
.LBB0_9:                                ;   in Loop: Header=BB0_5 Depth=1
	s_or_b32 exec_lo, exec_lo, s31
	global_load_b64 v[2:3], v1, s[24:25]
	s_mov_b32 s31, exec_lo
	s_waitcnt vmcnt(0)
	v_mul_lo_u32 v3, 0x814, v3
	v_mul_hi_u32 v5, 0x814, v2
	v_mul_lo_u32 v2, 0x814, v2
	s_delay_alu instid0(VALU_DEP_2) | instskip(NEXT) | instid1(VALU_DEP_2)
	v_add_nc_u32_e32 v3, v5, v3
	v_add_co_u32 v2, vcc_lo, s10, v2
	s_delay_alu instid0(VALU_DEP_2) | instskip(NEXT) | instid1(VALU_DEP_2)
	v_add_co_ci_u32_e32 v3, vcc_lo, s11, v3, vcc_lo
	v_readfirstlane_b32 s34, v2
	s_delay_alu instid0(VALU_DEP_2)
	v_readfirstlane_b32 s35, v3
	global_load_b32 v5, v4, s[34:35] offset:1032
	s_waitcnt vmcnt(0)
	v_cmpx_ge_i32_e64 s1, v5
	s_cbranch_execz .LBB0_13
; %bb.10:                               ;   in Loop: Header=BB0_5 Depth=1
	v_add_co_u32 v5, vcc_lo, 0x408, v2
	v_add_co_ci_u32_e32 v6, vcc_lo, 0, v3, vcc_lo
	s_delay_alu instid0(VALU_DEP_2) | instskip(NEXT) | instid1(VALU_DEP_2)
	v_readfirstlane_b32 s34, v5
	v_readfirstlane_b32 s35, v6
	global_load_b32 v5, v4, s[34:35] offset:4
	s_waitcnt vmcnt(0)
	v_cmp_lt_i32_e32 vcc_lo, s1, v5
	s_and_b32 exec_lo, exec_lo, vcc_lo
	s_cbranch_execz .LBB0_13
; %bb.11:                               ;   in Loop: Header=BB0_5 Depth=1
	v_add_co_u32 v2, vcc_lo, v2, v4
	v_add_co_ci_u32_e32 v3, vcc_lo, 0, v3, vcc_lo
	global_load_b32 v2, v[2:3], off offset:4
	s_waitcnt vmcnt(0)
	v_ashrrev_i32_e32 v3, 31, v2
	s_delay_alu instid0(VALU_DEP_1)
	v_cmp_gt_i64_e32 vcc_lo, s[22:23], v[2:3]
	s_and_b32 exec_lo, exec_lo, vcc_lo
	s_cbranch_execz .LBB0_13
; %bb.12:                               ;   in Loop: Header=BB0_5 Depth=1
	global_store_b64 v1, v[2:3], s[26:27]
.LBB0_13:                               ;   in Loop: Header=BB0_5 Depth=1
	s_or_b32 exec_lo, exec_lo, s31
	s_waitcnt_vscnt null, 0x0
	s_barrier
	buffer_gl0_inv
	s_and_saveexec_b32 s31, s0
	s_cbranch_execz .LBB0_4
; %bb.14:                               ;   in Loop: Header=BB0_5 Depth=1
	s_clause 0x1
	global_load_b64 v[2:3], v1, s[4:5]
	global_load_b64 v[5:6], v1, s[26:27]
	s_waitcnt vmcnt(1)
	global_store_b64 v1, v[2:3], s[20:21]
	s_waitcnt vmcnt(0)
	global_store_b64 v1, v[5:6], s[24:25]
	s_branch .LBB0_4
.LBB0_15:
	s_lshl_b64 s[0:1], s[2:3], 3
	v_mov_b32_e32 v4, 0
	s_add_u32 s4, s18, s0
	s_addc_u32 s5, s19, s1
	v_lshlrev_b64 v[0:1], 2, v[0:1]
	global_load_b64 v[2:3], v4, s[4:5]
	s_mov_b32 s4, exec_lo
	s_waitcnt vmcnt(0)
	v_mul_lo_u32 v3, 0x814, v3
	v_mul_hi_u32 v5, 0x814, v2
	v_mul_lo_u32 v2, 0x814, v2
	s_delay_alu instid0(VALU_DEP_2) | instskip(NEXT) | instid1(VALU_DEP_2)
	v_add_nc_u32_e32 v3, v5, v3
	v_add_co_u32 v2, vcc_lo, s10, v2
	s_delay_alu instid0(VALU_DEP_2) | instskip(NEXT) | instid1(VALU_DEP_2)
	v_add_co_ci_u32_e32 v3, vcc_lo, s11, v3, vcc_lo
	v_add_co_u32 v2, vcc_lo, v2, v0
	s_delay_alu instid0(VALU_DEP_2)
	v_add_co_ci_u32_e32 v3, vcc_lo, v3, v1, vcc_lo
	global_load_b32 v5, v[2:3], off offset:1032
	s_waitcnt vmcnt(0) lgkmcnt(0)
	v_cmpx_eq_u32_e64 s30, v5
	s_cbranch_execz .LBB0_17
; %bb.16:
	global_load_b32 v2, v[2:3], off offset:4
	s_lshl_b64 s[8:9], s[2:3], 2
	s_delay_alu instid0(SALU_CYCLE_1)
	s_add_u32 s8, s12, s8
	s_addc_u32 s9, s13, s9
	s_waitcnt vmcnt(0)
	global_store_b32 v4, v2, s[8:9]
.LBB0_17:
	s_or_b32 exec_lo, exec_lo, s4
	s_add_u32 s0, s16, s0
	s_addc_u32 s1, s17, s1
	s_waitcnt_vscnt null, 0x0
	s_barrier
	buffer_gl0_inv
	global_load_b64 v[2:3], v4, s[0:1]
	s_lshl_b64 s[0:1], s[2:3], 2
	s_delay_alu instid0(SALU_CYCLE_1)
	s_add_u32 s2, s6, s0
	s_addc_u32 s3, s7, s1
	s_load_b32 s2, s[2:3], 0x0
	s_waitcnt vmcnt(0)
	v_mul_lo_u32 v3, 0x814, v3
	v_mul_hi_u32 v4, 0x814, v2
	v_mul_lo_u32 v2, 0x814, v2
	s_delay_alu instid0(VALU_DEP_2) | instskip(NEXT) | instid1(VALU_DEP_2)
	v_add_nc_u32_e32 v3, v4, v3
	v_add_co_u32 v2, vcc_lo, s10, v2
	s_delay_alu instid0(VALU_DEP_2) | instskip(NEXT) | instid1(VALU_DEP_2)
	v_add_co_ci_u32_e32 v3, vcc_lo, s11, v3, vcc_lo
	v_add_co_u32 v0, vcc_lo, v2, v0
	s_delay_alu instid0(VALU_DEP_2)
	v_add_co_ci_u32_e32 v1, vcc_lo, v3, v1, vcc_lo
	global_load_b32 v2, v[0:1], off offset:1032
	s_waitcnt vmcnt(0) lgkmcnt(0)
	v_cmp_eq_u32_e32 vcc_lo, s2, v2
	s_and_saveexec_b32 s2, vcc_lo
	s_cbranch_execz .LBB0_19
; %bb.18:
	v_mov_b32_e32 v2, 0
	s_add_u32 s2, s12, s0
	s_addc_u32 s3, s13, s1
	s_add_u32 s0, s14, s0
	global_load_b32 v0, v[0:1], off offset:4
	global_load_b32 v1, v2, s[2:3]
	s_addc_u32 s1, s15, s1
	s_waitcnt vmcnt(0)
	v_sub_nc_u32_e32 v0, v0, v1
	s_delay_alu instid0(VALU_DEP_1)
	v_add_nc_u32_e32 v0, 1, v0
	global_store_b32 v2, v0, s[0:1]
.LBB0_19:
	s_nop 0
	s_sendmsg sendmsg(MSG_DEALLOC_VGPRS)
	s_endpgm
	.section	.rodata,"a",@progbits
	.p2align	6, 0x0
	.amdhsa_kernel _Z10findRangeKlPK5knodelPlS2_S2_S2_PKiS4_PiS5_
		.amdhsa_group_segment_fixed_size 0
		.amdhsa_private_segment_fixed_size 0
		.amdhsa_kernarg_size 88
		.amdhsa_user_sgpr_count 15
		.amdhsa_user_sgpr_dispatch_ptr 0
		.amdhsa_user_sgpr_queue_ptr 0
		.amdhsa_user_sgpr_kernarg_segment_ptr 1
		.amdhsa_user_sgpr_dispatch_id 0
		.amdhsa_user_sgpr_private_segment_size 0
		.amdhsa_wavefront_size32 1
		.amdhsa_uses_dynamic_stack 0
		.amdhsa_enable_private_segment 0
		.amdhsa_system_sgpr_workgroup_id_x 1
		.amdhsa_system_sgpr_workgroup_id_y 0
		.amdhsa_system_sgpr_workgroup_id_z 0
		.amdhsa_system_sgpr_workgroup_info 0
		.amdhsa_system_vgpr_workitem_id 0
		.amdhsa_next_free_vgpr 7
		.amdhsa_next_free_sgpr 36
		.amdhsa_reserve_vcc 1
		.amdhsa_float_round_mode_32 0
		.amdhsa_float_round_mode_16_64 0
		.amdhsa_float_denorm_mode_32 3
		.amdhsa_float_denorm_mode_16_64 3
		.amdhsa_dx10_clamp 1
		.amdhsa_ieee_mode 1
		.amdhsa_fp16_overflow 0
		.amdhsa_workgroup_processor_mode 1
		.amdhsa_memory_ordered 1
		.amdhsa_forward_progress 0
		.amdhsa_shared_vgpr_count 0
		.amdhsa_exception_fp_ieee_invalid_op 0
		.amdhsa_exception_fp_denorm_src 0
		.amdhsa_exception_fp_ieee_div_zero 0
		.amdhsa_exception_fp_ieee_overflow 0
		.amdhsa_exception_fp_ieee_underflow 0
		.amdhsa_exception_fp_ieee_inexact 0
		.amdhsa_exception_int_div_zero 0
	.end_amdhsa_kernel
	.text
.Lfunc_end0:
	.size	_Z10findRangeKlPK5knodelPlS2_S2_S2_PKiS4_PiS5_, .Lfunc_end0-_Z10findRangeKlPK5knodelPlS2_S2_S2_PKiS4_PiS5_
                                        ; -- End function
	.section	.AMDGPU.csdata,"",@progbits
; Kernel info:
; codeLenInByte = 1212
; NumSgprs: 38
; NumVgprs: 7
; ScratchSize: 0
; MemoryBound: 1
; FloatMode: 240
; IeeeMode: 1
; LDSByteSize: 0 bytes/workgroup (compile time only)
; SGPRBlocks: 4
; VGPRBlocks: 0
; NumSGPRsForWavesPerEU: 38
; NumVGPRsForWavesPerEU: 7
; Occupancy: 16
; WaveLimiterHint : 1
; COMPUTE_PGM_RSRC2:SCRATCH_EN: 0
; COMPUTE_PGM_RSRC2:USER_SGPR: 15
; COMPUTE_PGM_RSRC2:TRAP_HANDLER: 0
; COMPUTE_PGM_RSRC2:TGID_X_EN: 1
; COMPUTE_PGM_RSRC2:TGID_Y_EN: 0
; COMPUTE_PGM_RSRC2:TGID_Z_EN: 0
; COMPUTE_PGM_RSRC2:TIDIG_COMP_CNT: 0
	.text
	.p2alignl 7, 3214868480
	.fill 96, 4, 3214868480
	.type	__hip_cuid_69f33aef6bde7aca,@object ; @__hip_cuid_69f33aef6bde7aca
	.section	.bss,"aw",@nobits
	.globl	__hip_cuid_69f33aef6bde7aca
__hip_cuid_69f33aef6bde7aca:
	.byte	0                               ; 0x0
	.size	__hip_cuid_69f33aef6bde7aca, 1

	.ident	"AMD clang version 19.0.0git (https://github.com/RadeonOpenCompute/llvm-project roc-6.4.0 25133 c7fe45cf4b819c5991fe208aaa96edf142730f1d)"
	.section	".note.GNU-stack","",@progbits
	.addrsig
	.addrsig_sym __hip_cuid_69f33aef6bde7aca
	.amdgpu_metadata
---
amdhsa.kernels:
  - .args:
      - .offset:         0
        .size:           8
        .value_kind:     by_value
      - .actual_access:  read_only
        .address_space:  global
        .offset:         8
        .size:           8
        .value_kind:     global_buffer
      - .offset:         16
        .size:           8
        .value_kind:     by_value
      - .address_space:  global
        .offset:         24
        .size:           8
        .value_kind:     global_buffer
      - .address_space:  global
        .offset:         32
        .size:           8
        .value_kind:     global_buffer
      - .address_space:  global
        .offset:         40
        .size:           8
        .value_kind:     global_buffer
      - .address_space:  global
        .offset:         48
        .size:           8
        .value_kind:     global_buffer
      - .actual_access:  read_only
        .address_space:  global
        .offset:         56
        .size:           8
        .value_kind:     global_buffer
      - .actual_access:  read_only
        .address_space:  global
        .offset:         64
        .size:           8
        .value_kind:     global_buffer
      - .address_space:  global
        .offset:         72
        .size:           8
        .value_kind:     global_buffer
      - .actual_access:  write_only
        .address_space:  global
        .offset:         80
        .size:           8
        .value_kind:     global_buffer
    .group_segment_fixed_size: 0
    .kernarg_segment_align: 8
    .kernarg_segment_size: 88
    .language:       OpenCL C
    .language_version:
      - 2
      - 0
    .max_flat_workgroup_size: 1024
    .name:           _Z10findRangeKlPK5knodelPlS2_S2_S2_PKiS4_PiS5_
    .private_segment_fixed_size: 0
    .sgpr_count:     38
    .sgpr_spill_count: 0
    .symbol:         _Z10findRangeKlPK5knodelPlS2_S2_S2_PKiS4_PiS5_.kd
    .uniform_work_group_size: 1
    .uses_dynamic_stack: false
    .vgpr_count:     7
    .vgpr_spill_count: 0
    .wavefront_size: 32
    .workgroup_processor_mode: 1
amdhsa.target:   amdgcn-amd-amdhsa--gfx1100
amdhsa.version:
  - 1
  - 2
...

	.end_amdgpu_metadata
